;; amdgpu-corpus repo=ROCm/rocFFT kind=compiled arch=gfx906 opt=O3
	.text
	.amdgcn_target "amdgcn-amd-amdhsa--gfx906"
	.amdhsa_code_object_version 6
	.protected	fft_rtc_fwd_len297_factors_9_3_11_wgs_231_tpt_33_halfLds_sp_ip_CI_unitstride_sbrr_dirReg ; -- Begin function fft_rtc_fwd_len297_factors_9_3_11_wgs_231_tpt_33_halfLds_sp_ip_CI_unitstride_sbrr_dirReg
	.globl	fft_rtc_fwd_len297_factors_9_3_11_wgs_231_tpt_33_halfLds_sp_ip_CI_unitstride_sbrr_dirReg
	.p2align	8
	.type	fft_rtc_fwd_len297_factors_9_3_11_wgs_231_tpt_33_halfLds_sp_ip_CI_unitstride_sbrr_dirReg,@function
fft_rtc_fwd_len297_factors_9_3_11_wgs_231_tpt_33_halfLds_sp_ip_CI_unitstride_sbrr_dirReg: ; @fft_rtc_fwd_len297_factors_9_3_11_wgs_231_tpt_33_halfLds_sp_ip_CI_unitstride_sbrr_dirReg
; %bb.0:
	s_load_dwordx2 s[2:3], s[4:5], 0x50
	s_load_dwordx4 s[8:11], s[4:5], 0x0
	s_load_dwordx2 s[12:13], s[4:5], 0x18
	v_mul_u32_u24_e32 v1, 0x7c2, v0
	v_lshrrev_b32_e32 v1, 16, v1
	v_mad_u64_u32 v[4:5], s[0:1], s6, 7, v[1:2]
	v_mov_b32_e32 v6, 0
	s_waitcnt lgkmcnt(0)
	v_cmp_lt_u64_e64 s[0:1], s[10:11], 2
	v_mov_b32_e32 v5, v6
	v_mov_b32_e32 v1, 0
	;; [unrolled: 1-line block ×3, first 2 shown]
	s_and_b64 vcc, exec, s[0:1]
	v_mov_b32_e32 v2, 0
	v_mov_b32_e32 v10, v4
	s_cbranch_vccnz .LBB0_8
; %bb.1:
	s_load_dwordx2 s[0:1], s[4:5], 0x10
	s_add_u32 s6, s12, 8
	s_addc_u32 s7, s13, 0
	v_mov_b32_e32 v1, 0
	v_mov_b32_e32 v9, v5
	s_waitcnt lgkmcnt(0)
	s_add_u32 s16, s0, 8
	s_mov_b64 s[14:15], 1
	v_mov_b32_e32 v2, 0
	s_addc_u32 s17, s1, 0
	v_mov_b32_e32 v8, v4
.LBB0_2:                                ; =>This Inner Loop Header: Depth=1
	s_load_dwordx2 s[18:19], s[16:17], 0x0
                                        ; implicit-def: $vgpr10_vgpr11
	s_waitcnt lgkmcnt(0)
	v_or_b32_e32 v7, s19, v9
	v_cmp_ne_u64_e32 vcc, 0, v[6:7]
	s_and_saveexec_b64 s[0:1], vcc
	s_xor_b64 s[20:21], exec, s[0:1]
	s_cbranch_execz .LBB0_4
; %bb.3:                                ;   in Loop: Header=BB0_2 Depth=1
	v_cvt_f32_u32_e32 v3, s18
	v_cvt_f32_u32_e32 v5, s19
	s_sub_u32 s0, 0, s18
	s_subb_u32 s1, 0, s19
	v_mac_f32_e32 v3, 0x4f800000, v5
	v_rcp_f32_e32 v3, v3
	v_mul_f32_e32 v3, 0x5f7ffffc, v3
	v_mul_f32_e32 v5, 0x2f800000, v3
	v_trunc_f32_e32 v5, v5
	v_mac_f32_e32 v3, 0xcf800000, v5
	v_cvt_u32_f32_e32 v5, v5
	v_cvt_u32_f32_e32 v3, v3
	v_mul_lo_u32 v7, s0, v5
	v_mul_hi_u32 v10, s0, v3
	v_mul_lo_u32 v12, s1, v3
	v_mul_lo_u32 v11, s0, v3
	v_add_u32_e32 v7, v10, v7
	v_add_u32_e32 v7, v7, v12
	v_mul_hi_u32 v10, v3, v11
	v_mul_lo_u32 v12, v3, v7
	v_mul_hi_u32 v14, v3, v7
	v_mul_hi_u32 v13, v5, v11
	v_mul_lo_u32 v11, v5, v11
	v_mul_hi_u32 v15, v5, v7
	v_add_co_u32_e32 v10, vcc, v10, v12
	v_addc_co_u32_e32 v12, vcc, 0, v14, vcc
	v_mul_lo_u32 v7, v5, v7
	v_add_co_u32_e32 v10, vcc, v10, v11
	v_addc_co_u32_e32 v10, vcc, v12, v13, vcc
	v_addc_co_u32_e32 v11, vcc, 0, v15, vcc
	v_add_co_u32_e32 v7, vcc, v10, v7
	v_addc_co_u32_e32 v10, vcc, 0, v11, vcc
	v_add_co_u32_e32 v3, vcc, v3, v7
	v_addc_co_u32_e32 v5, vcc, v5, v10, vcc
	v_mul_lo_u32 v7, s0, v5
	v_mul_hi_u32 v10, s0, v3
	v_mul_lo_u32 v11, s1, v3
	v_mul_lo_u32 v12, s0, v3
	v_add_u32_e32 v7, v10, v7
	v_add_u32_e32 v7, v7, v11
	v_mul_lo_u32 v13, v3, v7
	v_mul_hi_u32 v14, v3, v12
	v_mul_hi_u32 v15, v3, v7
	;; [unrolled: 1-line block ×3, first 2 shown]
	v_mul_lo_u32 v12, v5, v12
	v_mul_hi_u32 v10, v5, v7
	v_add_co_u32_e32 v13, vcc, v14, v13
	v_addc_co_u32_e32 v14, vcc, 0, v15, vcc
	v_mul_lo_u32 v7, v5, v7
	v_add_co_u32_e32 v12, vcc, v13, v12
	v_addc_co_u32_e32 v11, vcc, v14, v11, vcc
	v_addc_co_u32_e32 v10, vcc, 0, v10, vcc
	v_add_co_u32_e32 v7, vcc, v11, v7
	v_addc_co_u32_e32 v10, vcc, 0, v10, vcc
	v_add_co_u32_e32 v3, vcc, v3, v7
	v_addc_co_u32_e32 v5, vcc, v5, v10, vcc
	v_mad_u64_u32 v[10:11], s[0:1], v8, v5, 0
	v_mul_hi_u32 v7, v8, v3
	v_mad_u64_u32 v[12:13], s[0:1], v9, v5, 0
	v_add_co_u32_e32 v7, vcc, v7, v10
	v_addc_co_u32_e32 v14, vcc, 0, v11, vcc
	v_mad_u64_u32 v[10:11], s[0:1], v9, v3, 0
	v_add_co_u32_e32 v3, vcc, v7, v10
	v_addc_co_u32_e32 v3, vcc, v14, v11, vcc
	v_addc_co_u32_e32 v5, vcc, 0, v13, vcc
	v_add_co_u32_e32 v3, vcc, v3, v12
	v_addc_co_u32_e32 v5, vcc, 0, v5, vcc
	v_mul_lo_u32 v7, s19, v3
	v_mul_lo_u32 v12, s18, v5
	v_mad_u64_u32 v[10:11], s[0:1], s18, v3, 0
	v_add3_u32 v7, v11, v12, v7
	v_sub_u32_e32 v11, v9, v7
	v_mov_b32_e32 v12, s19
	v_sub_co_u32_e32 v10, vcc, v8, v10
	v_subb_co_u32_e64 v11, s[0:1], v11, v12, vcc
	v_subrev_co_u32_e64 v12, s[0:1], s18, v10
	v_subbrev_co_u32_e64 v11, s[0:1], 0, v11, s[0:1]
	v_cmp_le_u32_e64 s[0:1], s19, v11
	v_cndmask_b32_e64 v13, 0, -1, s[0:1]
	v_cmp_le_u32_e64 s[0:1], s18, v12
	v_cndmask_b32_e64 v12, 0, -1, s[0:1]
	v_cmp_eq_u32_e64 s[0:1], s19, v11
	v_cndmask_b32_e64 v11, v13, v12, s[0:1]
	v_add_co_u32_e64 v12, s[0:1], 2, v3
	v_addc_co_u32_e64 v13, s[0:1], 0, v5, s[0:1]
	v_add_co_u32_e64 v14, s[0:1], 1, v3
	v_addc_co_u32_e64 v15, s[0:1], 0, v5, s[0:1]
	v_subb_co_u32_e32 v7, vcc, v9, v7, vcc
	v_cmp_ne_u32_e64 s[0:1], 0, v11
	v_cmp_le_u32_e32 vcc, s19, v7
	v_cndmask_b32_e64 v11, v15, v13, s[0:1]
	v_cndmask_b32_e64 v13, 0, -1, vcc
	v_cmp_le_u32_e32 vcc, s18, v10
	v_cndmask_b32_e64 v10, 0, -1, vcc
	v_cmp_eq_u32_e32 vcc, s19, v7
	v_cndmask_b32_e32 v7, v13, v10, vcc
	v_cmp_ne_u32_e32 vcc, 0, v7
	v_cndmask_b32_e32 v11, v5, v11, vcc
	v_cndmask_b32_e64 v5, v14, v12, s[0:1]
	v_cndmask_b32_e32 v10, v3, v5, vcc
.LBB0_4:                                ;   in Loop: Header=BB0_2 Depth=1
	s_andn2_saveexec_b64 s[0:1], s[20:21]
	s_cbranch_execz .LBB0_6
; %bb.5:                                ;   in Loop: Header=BB0_2 Depth=1
	v_cvt_f32_u32_e32 v3, s18
	s_sub_i32 s20, 0, s18
	v_mov_b32_e32 v11, v6
	v_rcp_iflag_f32_e32 v3, v3
	v_mul_f32_e32 v3, 0x4f7ffffe, v3
	v_cvt_u32_f32_e32 v3, v3
	v_mul_lo_u32 v5, s20, v3
	v_mul_hi_u32 v5, v3, v5
	v_add_u32_e32 v3, v3, v5
	v_mul_hi_u32 v3, v8, v3
	v_mul_lo_u32 v5, v3, s18
	v_add_u32_e32 v7, 1, v3
	v_sub_u32_e32 v5, v8, v5
	v_subrev_u32_e32 v10, s18, v5
	v_cmp_le_u32_e32 vcc, s18, v5
	v_cndmask_b32_e32 v5, v5, v10, vcc
	v_cndmask_b32_e32 v3, v3, v7, vcc
	v_add_u32_e32 v7, 1, v3
	v_cmp_le_u32_e32 vcc, s18, v5
	v_cndmask_b32_e32 v10, v3, v7, vcc
.LBB0_6:                                ;   in Loop: Header=BB0_2 Depth=1
	s_or_b64 exec, exec, s[0:1]
	v_mul_lo_u32 v3, v11, s18
	v_mul_lo_u32 v5, v10, s19
	v_mad_u64_u32 v[12:13], s[0:1], v10, s18, 0
	s_load_dwordx2 s[0:1], s[6:7], 0x0
	s_add_u32 s14, s14, 1
	v_add3_u32 v3, v13, v5, v3
	v_sub_co_u32_e32 v5, vcc, v8, v12
	v_subb_co_u32_e32 v3, vcc, v9, v3, vcc
	s_waitcnt lgkmcnt(0)
	v_mul_lo_u32 v3, s0, v3
	v_mul_lo_u32 v7, s1, v5
	v_mad_u64_u32 v[1:2], s[0:1], s0, v5, v[1:2]
	s_addc_u32 s15, s15, 0
	s_add_u32 s6, s6, 8
	v_add3_u32 v2, v7, v2, v3
	v_mov_b32_e32 v7, s10
	v_mov_b32_e32 v8, s11
	s_addc_u32 s7, s7, 0
	v_cmp_ge_u64_e32 vcc, s[14:15], v[7:8]
	s_add_u32 s16, s16, 8
	s_addc_u32 s17, s17, 0
	s_cbranch_vccnz .LBB0_8
; %bb.7:                                ;   in Loop: Header=BB0_2 Depth=1
	v_mov_b32_e32 v8, v10
	v_mov_b32_e32 v9, v11
	s_branch .LBB0_2
.LBB0_8:
	s_lshl_b64 s[0:1], s[10:11], 3
	s_add_u32 s0, s12, s0
	s_addc_u32 s1, s13, s1
	s_load_dwordx2 s[6:7], s[0:1], 0x0
	s_load_dwordx2 s[10:11], s[4:5], 0x20
	v_mov_b32_e32 v15, 0
	v_mov_b32_e32 v16, 0
	;; [unrolled: 1-line block ×3, first 2 shown]
	s_waitcnt lgkmcnt(0)
	v_mad_u64_u32 v[1:2], s[0:1], s6, v10, v[1:2]
	s_mov_b32 s0, 0x7c1f07d
	v_mul_lo_u32 v3, s6, v11
	v_mul_lo_u32 v5, s7, v10
	v_mul_hi_u32 v6, v0, s0
	v_cmp_gt_u64_e32 vcc, s[10:11], v[10:11]
	v_mov_b32_e32 v11, v15
	v_add3_u32 v2, v5, v2, v3
	v_mul_u32_u24_e32 v3, 33, v6
	v_sub_u32_e32 v0, v0, v3
	v_lshlrev_b64 v[2:3], 3, v[1:2]
	v_mov_b32_e32 v9, v15
	v_mov_b32_e32 v17, v15
	;; [unrolled: 1-line block ×4, first 2 shown]
                                        ; implicit-def: $vgpr6
                                        ; implicit-def: $vgpr8
                                        ; implicit-def: $vgpr22
                                        ; implicit-def: $vgpr20
                                        ; implicit-def: $vgpr14
	s_and_saveexec_b64 s[4:5], vcc
	s_cbranch_execz .LBB0_10
; %bb.9:
	v_mov_b32_e32 v1, 0
	v_mov_b32_e32 v5, s3
	v_add_co_u32_e64 v7, s[0:1], s2, v2
	v_addc_co_u32_e64 v8, s[0:1], v5, v3, s[0:1]
	v_lshlrev_b64 v[5:6], 3, v[0:1]
	v_add_co_u32_e64 v23, s[0:1], v7, v5
	v_addc_co_u32_e64 v24, s[0:1], v8, v6, s[0:1]
	global_load_dwordx2 v[5:6], v[23:24], off
	global_load_dwordx2 v[15:16], v[23:24], off offset:264
	global_load_dwordx2 v[17:18], v[23:24], off offset:528
	global_load_dwordx2 v[11:12], v[23:24], off offset:792
	global_load_dwordx2 v[9:10], v[23:24], off offset:1056
	global_load_dwordx2 v[7:8], v[23:24], off offset:1320
	global_load_dwordx2 v[13:14], v[23:24], off offset:1584
	global_load_dwordx2 v[19:20], v[23:24], off offset:1848
	global_load_dwordx2 v[21:22], v[23:24], off offset:2112
.LBB0_10:
	s_or_b64 exec, exec, s[4:5]
	s_mov_b32 s0, 0x24924925
	s_waitcnt vmcnt(0)
	v_add_f32_e32 v28, v22, v16
	v_sub_f32_e32 v16, v16, v22
	v_mul_hi_u32 v22, v4, s0
	v_add_f32_e32 v29, v20, v18
	v_sub_f32_e32 v18, v18, v20
	v_add_f32_e32 v1, v21, v15
	v_sub_u32_e32 v20, v4, v22
	v_lshrrev_b32_e32 v20, 1, v20
	v_add_u32_e32 v20, v20, v22
	v_lshrrev_b32_e32 v20, 2, v20
	v_mul_lo_u32 v20, v20, 7
	v_sub_f32_e32 v15, v15, v21
	v_add_f32_e32 v21, v19, v17
	v_sub_f32_e32 v17, v17, v19
	v_add_f32_e32 v19, v13, v11
	;; [unrolled: 2-line block ×3, first 2 shown]
	v_add_f32_e32 v30, v14, v12
	v_sub_f32_e32 v12, v12, v14
	v_add_f32_e32 v14, v13, v19
	v_add_f32_e32 v31, v28, v29
	v_sub_u32_e32 v4, v4, v20
	v_add_f32_e32 v14, v14, v9
	v_add_f32_e32 v20, v31, v30
	;; [unrolled: 1-line block ×3, first 2 shown]
	v_sub_f32_e32 v32, v9, v7
	v_sub_f32_e32 v22, v10, v8
	v_add_f32_e32 v9, v7, v9
	v_add_f32_e32 v7, v7, v14
	;; [unrolled: 1-line block ×4, first 2 shown]
	s_mov_b32 s0, 0xbf248dbb
	v_mul_f32_e32 v14, 0x3f7c1c5c, v22
	v_add_f32_e32 v7, v5, v7
	v_mov_b32_e32 v20, v5
	v_mov_b32_e32 v23, v5
	v_add_f32_e32 v24, v5, v19
	v_fmac_f32_e32 v5, 0x3f441b7d, v21
	v_fma_f32 v14, v18, s0, -v14
	v_fmac_f32_e32 v5, 0x3e31d0d4, v9
	v_mul_u32_u24_e32 v4, 0x129, v4
	v_fmac_f32_e32 v14, 0x3f5db3d7, v12
	v_fmac_f32_e32 v5, -0.5, v19
	v_fmac_f32_e32 v14, 0x3eaf1d44, v16
	v_fmac_f32_e32 v5, 0xbf708fb2, v1
	v_lshlrev_b32_e32 v4, 2, v4
	v_add_f32_e32 v5, v5, v14
	v_add_u32_e32 v25, 0, v4
	v_fma_f32 v14, -2.0, v14, v5
	v_mad_u32_u24 v33, v0, 36, v25
	ds_write2_b32 v33, v5, v14 offset0:4 offset1:5
	v_add_f32_e32 v5, v13, v9
	v_fmac_f32_e32 v24, -0.5, v5
	v_mul_f32_e32 v5, 0xbf248dbb, v22
	v_fmac_f32_e32 v23, 0x3f441b7d, v9
	v_fmac_f32_e32 v5, 0x3f7c1c5c, v16
	;; [unrolled: 1-line block ×4, first 2 shown]
	v_fmac_f32_e32 v23, -0.5, v19
	v_add_f32_e32 v14, v16, v22
	v_fmac_f32_e32 v5, 0x3eaf1d44, v18
	v_fmac_f32_e32 v23, 0xbf708fb2, v21
	v_sub_f32_e32 v14, v14, v18
	v_add_f32_e32 v13, v5, v23
	v_fmac_f32_e32 v24, 0x3f5db3d7, v14
	v_fma_f32 v5, -2.0, v5, v13
	ds_write2_b32 v33, v13, v24 offset0:2 offset1:3
	v_mul_f32_e32 v13, 0x3f5db3d7, v14
	v_fma_f32 v13, -2.0, v13, v24
	ds_write2_b32 v33, v13, v5 offset0:6 offset1:7
	v_mul_f32_e32 v5, 0x3f7c1c5c, v18
	v_fmac_f32_e32 v20, 0x3f441b7d, v1
	v_fmac_f32_e32 v5, 0x3f248dbb, v16
	;; [unrolled: 1-line block ×4, first 2 shown]
	v_fmac_f32_e32 v20, -0.5, v19
	v_fmac_f32_e32 v5, 0x3eaf1d44, v22
	v_fmac_f32_e32 v20, 0xbf708fb2, v9
	v_add_f32_e32 v1, v20, v5
	ds_write2_b32 v33, v7, v1 offset1:1
	v_mov_b32_e32 v9, v6
	v_fma_f32 v1, -2.0, v5, v1
	v_mul_f32_e32 v5, 0x3f7c1c5c, v32
	v_add_f32_e32 v8, v6, v8
	v_mov_b32_e32 v13, v6
	v_add_f32_e32 v14, v6, v30
	v_fmac_f32_e32 v6, 0x3f441b7d, v29
	v_fma_f32 v5, v17, s0, -v5
	v_fmac_f32_e32 v6, 0x3e31d0d4, v10
	v_fmac_f32_e32 v5, 0x3f5db3d7, v11
	v_fmac_f32_e32 v6, -0.5, v30
	v_fmac_f32_e32 v5, 0x3eaf1d44, v15
	v_fmac_f32_e32 v6, 0xbf708fb2, v28
	v_sub_f32_e32 v16, v6, v5
	ds_write_b32 v33, v1 offset:32
	v_fma_f32 v1, 2.0, v5, v16
	v_lshlrev_b32_e32 v5, 5, v0
	v_lshl_add_u32 v25, v0, 2, v25
	v_sub_u32_e32 v22, v33, v5
	s_waitcnt lgkmcnt(0)
	s_barrier
	v_add_u32_e32 v12, 0x200, v22
	ds_read_b32 v5, v25
	ds_read2_b32 v[19:20], v22 offset0:99 offset1:132
	ds_read2_b32 v[26:27], v22 offset0:165 offset1:198
	;; [unrolled: 1-line block ×4, first 2 shown]
	s_waitcnt lgkmcnt(0)
	s_barrier
	ds_write2_b32 v33, v16, v1 offset0:4 offset1:5
	v_mul_f32_e32 v1, 0x3f7c1c5c, v17
	v_fmac_f32_e32 v9, 0x3f441b7d, v28
	v_fmac_f32_e32 v1, 0x3f248dbb, v15
	;; [unrolled: 1-line block ×4, first 2 shown]
	v_fmac_f32_e32 v9, -0.5, v30
	v_fmac_f32_e32 v1, 0x3eaf1d44, v32
	v_fmac_f32_e32 v9, 0xbf708fb2, v10
	v_sub_f32_e32 v9, v9, v1
	ds_write2_b32 v33, v8, v9 offset1:1
	v_mul_f32_e32 v8, 0xbf248dbb, v32
	v_fmac_f32_e32 v13, 0x3f441b7d, v10
	v_fmac_f32_e32 v8, 0x3f7c1c5c, v15
	;; [unrolled: 1-line block ×3, first 2 shown]
	v_fma_f32 v1, 2.0, v1, v9
	v_fmac_f32_e32 v8, 0xbf5db3d7, v11
	v_fmac_f32_e32 v13, -0.5, v30
	v_add_f32_e32 v9, v15, v32
	v_add_f32_e32 v10, v31, v10
	v_fmac_f32_e32 v13, 0xbf708fb2, v29
	v_fmac_f32_e32 v8, 0x3eaf1d44, v17
	v_sub_f32_e32 v9, v9, v17
	v_fmac_f32_e32 v14, -0.5, v10
	v_sub_f32_e32 v10, v13, v8
	v_fmac_f32_e32 v14, 0xbf5db3d7, v9
	v_mul_f32_e32 v9, 0x3f5db3d7, v9
	v_fma_f32 v8, 2.0, v8, v10
	v_fma_f32 v9, 2.0, v9, v14
	ds_write2_b32 v33, v10, v14 offset0:2 offset1:3
	ds_write2_b32 v33, v9, v8 offset0:6 offset1:7
	ds_write_b32 v33, v1 offset:32
	v_mov_b32_e32 v1, 57
	v_mul_lo_u16_sdwa v8, v0, v1 dst_sel:DWORD dst_unused:UNUSED_PAD src0_sel:BYTE_0 src1_sel:DWORD
	v_lshrrev_b16_e32 v17, 9, v8
	v_mul_lo_u16_e32 v8, 9, v17
	v_sub_u16_e32 v39, v0, v8
	v_mov_b32_e32 v18, 4
	v_lshlrev_b32_sdwa v8, v18, v39 dst_sel:DWORD dst_unused:UNUSED_PAD src0_sel:DWORD src1_sel:BYTE_0
	s_waitcnt lgkmcnt(0)
	s_barrier
	global_load_dwordx4 v[8:11], v8, s[8:9]
	v_add_u16_e32 v13, 33, v0
	v_mul_lo_u16_sdwa v14, v13, v1 dst_sel:DWORD dst_unused:UNUSED_PAD src0_sel:BYTE_0 src1_sel:DWORD
	v_add_u16_e32 v21, 0x42, v0
	v_lshrrev_b16_e32 v40, 9, v14
	v_mul_lo_u16_sdwa v1, v21, v1 dst_sel:DWORD dst_unused:UNUSED_PAD src0_sel:BYTE_0 src1_sel:DWORD
	v_mul_lo_u16_e32 v14, 9, v40
	v_lshrrev_b16_e32 v1, 9, v1
	v_sub_u16_e32 v41, v13, v14
	v_mul_lo_u16_e32 v28, 9, v1
	v_lshlrev_b32_sdwa v13, v18, v41 dst_sel:DWORD dst_unused:UNUSED_PAD src0_sel:DWORD src1_sel:BYTE_0
	global_load_dwordx4 v[13:16], v13, s[8:9]
	v_sub_u16_e32 v42, v21, v28
	v_lshlrev_b32_sdwa v18, v18, v42 dst_sel:DWORD dst_unused:UNUSED_PAD src0_sel:DWORD src1_sel:BYTE_0
	global_load_dwordx4 v[33:36], v18, s[8:9]
	ds_read2_b32 v[28:29], v22 offset0:99 offset1:132
	ds_read2_b32 v[37:38], v22 offset0:165 offset1:198
	s_movk_i32 s0, 0x6c
	v_mad_u32_u24 v1, v1, s0, 0
	s_waitcnt vmcnt(2) lgkmcnt(1)
	v_mul_f32_e32 v18, v28, v9
	v_mul_f32_e32 v21, v19, v9
	v_fma_f32 v18, v19, v8, -v18
	v_fmac_f32_e32 v21, v28, v8
	s_waitcnt lgkmcnt(0)
	v_mul_f32_e32 v8, v38, v11
	v_fma_f32 v28, v27, v10, -v8
	ds_read2_b32 v[8:9], v12 offset0:103 offset1:136
	v_mul_f32_e32 v32, v27, v11
	v_fmac_f32_e32 v32, v38, v10
	s_waitcnt vmcnt(1)
	v_mul_f32_e32 v10, v29, v14
	v_mul_f32_e32 v30, v23, v16
	v_fma_f32 v19, v20, v13, -v10
	v_mul_f32_e32 v20, v20, v14
	s_waitcnt lgkmcnt(0)
	v_mul_f32_e32 v10, v8, v16
	v_fmac_f32_e32 v30, v8, v15
	s_waitcnt vmcnt(0)
	v_mul_f32_e32 v8, v37, v34
	v_mul_f32_e32 v31, v24, v36
	v_fmac_f32_e32 v20, v29, v13
	v_fma_f32 v29, v23, v15, -v10
	v_fma_f32 v23, v26, v33, -v8
	v_mul_f32_e32 v8, v9, v36
	v_fmac_f32_e32 v31, v9, v35
	v_mov_b32_e32 v9, 2
	v_mul_f32_e32 v26, v26, v34
	v_fma_f32 v27, v24, v35, -v8
	v_mad_u32_u24 v8, v17, s0, 0
	v_lshlrev_b32_sdwa v10, v9, v39 dst_sel:DWORD dst_unused:UNUSED_PAD src0_sel:DWORD src1_sel:BYTE_0
	v_fmac_f32_e32 v26, v37, v33
	v_add3_u32 v33, v8, v10, v4
	v_mad_u32_u24 v8, v40, s0, 0
	v_lshlrev_b32_sdwa v10, v9, v41 dst_sel:DWORD dst_unused:UNUSED_PAD src0_sel:DWORD src1_sel:BYTE_0
	v_add3_u32 v34, v8, v10, v4
	v_lshlrev_b32_sdwa v8, v9, v42 dst_sel:DWORD dst_unused:UNUSED_PAD src0_sel:DWORD src1_sel:BYTE_0
	v_add3_u32 v35, v1, v8, v4
	v_add_f32_e32 v4, v18, v28
	v_add_f32_e32 v1, v5, v18
	v_fmac_f32_e32 v5, -0.5, v4
	v_add_f32_e32 v9, v19, v29
	v_mov_b32_e32 v4, v5
	v_sub_f32_e32 v8, v21, v32
	v_fma_f32 v10, -0.5, v9, v6
	v_fmac_f32_e32 v4, 0x3f5db3d7, v8
	v_fmac_f32_e32 v5, 0xbf5db3d7, v8
	v_add_f32_e32 v8, v6, v19
	v_mov_b32_e32 v9, v10
	v_sub_f32_e32 v6, v20, v30
	v_fmac_f32_e32 v9, 0x3f5db3d7, v6
	v_fmac_f32_e32 v10, 0xbf5db3d7, v6
	v_add_f32_e32 v6, v7, v23
	v_add_f32_e32 v11, v6, v27
	;; [unrolled: 1-line block ×3, first 2 shown]
	v_fmac_f32_e32 v7, -0.5, v6
	v_mov_b32_e32 v6, v7
	v_sub_f32_e32 v13, v26, v31
	v_fmac_f32_e32 v6, 0x3f5db3d7, v13
	v_fmac_f32_e32 v7, 0xbf5db3d7, v13
	ds_read_b32 v13, v25
	ds_read2_b32 v[14:15], v22 offset0:33 offset1:66
	v_add_f32_e32 v8, v8, v29
	v_add_f32_e32 v1, v1, v28
	v_cmp_gt_u32_e64 s[0:1], 27, v0
	s_waitcnt lgkmcnt(0)
	s_barrier
	ds_write2_b32 v33, v1, v4 offset1:9
	ds_write_b32 v33, v5 offset:72
	ds_write2_b32 v34, v8, v9 offset1:9
	ds_write_b32 v34, v10 offset:72
	;; [unrolled: 2-line block ×3, first 2 shown]
	s_waitcnt lgkmcnt(0)
	s_barrier
	s_waitcnt lgkmcnt(0)
                                        ; implicit-def: $vgpr17
	s_and_saveexec_b64 s[4:5], s[0:1]
	s_cbranch_execz .LBB0_12
; %bb.11:
	ds_read_b32 v1, v25
	ds_read2_b32 v[4:5], v22 offset0:27 offset1:54
	ds_read2_b32 v[8:9], v22 offset0:81 offset1:108
	ds_read2_b32 v[10:11], v22 offset0:135 offset1:162
	ds_read2_b32 v[6:7], v22 offset0:189 offset1:216
	ds_read2_b32 v[16:17], v12 offset0:115 offset1:142
.LBB0_12:
	s_or_b64 exec, exec, s[4:5]
	v_add_f32_e32 v12, v13, v21
	v_add_f32_e32 v24, v12, v32
	;; [unrolled: 1-line block ×3, first 2 shown]
	v_fmac_f32_e32 v13, -0.5, v12
	v_sub_f32_e32 v18, v18, v28
	v_mov_b32_e32 v12, v13
	v_fmac_f32_e32 v12, 0xbf5db3d7, v18
	v_fmac_f32_e32 v13, 0x3f5db3d7, v18
	v_add_f32_e32 v18, v14, v20
	v_add_f32_e32 v20, v20, v30
	v_fma_f32 v20, -0.5, v20, v14
	v_sub_f32_e32 v14, v19, v29
	v_mov_b32_e32 v19, v20
	v_fmac_f32_e32 v19, 0xbf5db3d7, v14
	v_fmac_f32_e32 v20, 0x3f5db3d7, v14
	v_add_f32_e32 v14, v15, v26
	v_add_f32_e32 v21, v14, v31
	;; [unrolled: 1-line block ×3, first 2 shown]
	v_fmac_f32_e32 v15, -0.5, v14
	v_sub_f32_e32 v23, v23, v27
	v_mov_b32_e32 v14, v15
	v_add_f32_e32 v18, v18, v30
	v_fmac_f32_e32 v14, 0xbf5db3d7, v23
	v_fmac_f32_e32 v15, 0x3f5db3d7, v23
	s_waitcnt lgkmcnt(0)
	s_barrier
	ds_write2_b32 v33, v24, v12 offset1:9
	ds_write_b32 v33, v13 offset:72
	ds_write2_b32 v34, v18, v19 offset1:9
	ds_write_b32 v34, v20 offset:72
	;; [unrolled: 2-line block ×3, first 2 shown]
	s_waitcnt lgkmcnt(0)
	s_barrier
	s_waitcnt lgkmcnt(0)
                                        ; implicit-def: $vgpr23
	s_and_saveexec_b64 s[4:5], s[0:1]
	s_cbranch_execnz .LBB0_15
; %bb.13:
	s_or_b64 exec, exec, s[4:5]
	s_and_b64 s[0:1], vcc, s[0:1]
	s_and_saveexec_b64 s[4:5], s[0:1]
	s_cbranch_execnz .LBB0_16
.LBB0_14:
	s_endpgm
.LBB0_15:
	ds_read_b32 v24, v25
	ds_read2_b32 v[12:13], v22 offset0:27 offset1:54
	ds_read2_b32 v[18:19], v22 offset0:81 offset1:108
	;; [unrolled: 1-line block ×4, first 2 shown]
	v_add_u32_e32 v22, 0x200, v22
	ds_read2_b32 v[22:23], v22 offset0:115 offset1:142
	s_or_b64 exec, exec, s[4:5]
	s_and_b64 s[0:1], vcc, s[0:1]
	s_and_saveexec_b64 s[4:5], s[0:1]
	s_cbranch_execz .LBB0_14
.LBB0_16:
	v_mul_u32_u24_e32 v25, 10, v0
	v_lshlrev_b32_e32 v45, 3, v25
	global_load_dwordx4 v[25:28], v45, s[8:9] offset:208
	global_load_dwordx4 v[29:32], v45, s[8:9] offset:144
	;; [unrolled: 1-line block ×5, first 2 shown]
	s_mov_b32 s0, 0xbf75a155
	s_mov_b32 s1, 0x3f575c64
	;; [unrolled: 1-line block ×5, first 2 shown]
	v_add_co_u32_e32 v2, vcc, s2, v2
	s_waitcnt vmcnt(4) lgkmcnt(0)
	v_mul_f32_e32 v45, v23, v28
	v_mul_f32_e32 v46, v22, v26
	;; [unrolled: 1-line block ×4, first 2 shown]
	s_waitcnt vmcnt(3)
	v_mul_f32_e32 v47, v12, v30
	v_mul_f32_e32 v30, v4, v30
	;; [unrolled: 1-line block ×4, first 2 shown]
	s_waitcnt vmcnt(0)
	v_mul_f32_e32 v53, v20, v42
	v_mul_f32_e32 v42, v10, v42
	v_fma_f32 v17, v17, v27, -v45
	v_fmac_f32_e32 v28, v23, v27
	v_fmac_f32_e32 v26, v22, v25
	v_fma_f32 v22, v4, v29, -v47
	v_fmac_f32_e32 v30, v12, v29
	v_mul_f32_e32 v49, v15, v36
	v_mul_f32_e32 v50, v14, v34
	v_mul_f32_e32 v36, v7, v36
	v_mul_f32_e32 v34, v6, v34
	v_mul_f32_e32 v51, v18, v38
	v_mul_f32_e32 v38, v8, v38
	v_mul_f32_e32 v54, v21, v44
	v_mul_f32_e32 v44, v11, v44
	v_fma_f32 v16, v16, v25, -v46
	v_fma_f32 v23, v5, v31, -v48
	v_fmac_f32_e32 v32, v13, v31
	v_fmac_f32_e32 v42, v20, v41
	v_sub_f32_e32 v12, v30, v28
	v_sub_f32_e32 v20, v22, v17
	v_mul_f32_e32 v52, v19, v40
	v_mul_f32_e32 v40, v9, v40
	v_fma_f32 v25, v7, v35, -v49
	v_fmac_f32_e32 v36, v15, v35
	v_fmac_f32_e32 v34, v14, v33
	v_fma_f32 v14, v8, v37, -v51
	v_fmac_f32_e32 v38, v18, v37
	v_fmac_f32_e32 v44, v21, v43
	v_add_f32_e32 v29, v22, v17
	v_sub_f32_e32 v13, v32, v26
	v_sub_f32_e32 v21, v23, v16
	v_mul_f32_e32 v49, 0xbe903f40, v12
	v_mul_f32_e32 v51, 0xbe903f40, v20
	v_fma_f32 v27, v6, v33, -v50
	v_fma_f32 v15, v9, v39, -v52
	v_fmac_f32_e32 v40, v19, v39
	v_fma_f32 v18, v10, v41, -v53
	v_add_f32_e32 v31, v23, v16
	v_add_f32_e32 v33, v30, v28
	v_sub_f32_e32 v39, v38, v36
	v_sub_f32_e32 v41, v14, v25
	v_mul_f32_e32 v50, 0x3f0a6770, v13
	v_mul_f32_e32 v52, 0x3f0a6770, v21
	v_fma_f32 v4, v29, s0, -v49
	v_mov_b32_e32 v6, v51
	v_fma_f32 v19, v11, v43, -v54
	v_add_f32_e32 v35, v32, v26
	v_add_f32_e32 v37, v14, v25
	v_sub_f32_e32 v45, v15, v27
	v_sub_f32_e32 v48, v40, v34
	v_mul_f32_e32 v53, 0xbf4178ce, v39
	v_mul_f32_e32 v54, 0xbf4178ce, v41
	v_fma_f32 v5, v31, s1, -v50
	v_mov_b32_e32 v7, v52
	v_add_f32_e32 v4, v1, v4
	v_fmac_f32_e32 v6, 0xbf75a155, v33
	v_add_f32_e32 v43, v38, v36
	v_add_f32_e32 v47, v15, v27
	v_mul_f32_e32 v55, 0x3f68dda4, v45
	v_fma_f32 v8, v37, s4, -v53
	v_mov_b32_e32 v9, v54
	v_fmac_f32_e32 v7, 0x3f575c64, v35
	v_add_f32_e32 v4, v4, v5
	v_add_f32_e32 v5, v24, v6
	v_mul_f32_e32 v56, 0x3f68dda4, v48
	v_sub_f32_e32 v57, v18, v19
	v_add_f32_e32 v46, v40, v34
	v_mov_b32_e32 v10, v55
	v_fmac_f32_e32 v9, 0xbf27a4f4, v43
	v_add_f32_e32 v5, v5, v7
	v_add_f32_e32 v4, v4, v8
	v_fma_f32 v6, v47, s5, -v56
	v_mul_f32_e32 v58, 0xbf7d64f0, v57
	v_fmac_f32_e32 v10, 0x3ed4b147, v46
	v_add_f32_e32 v5, v5, v9
	v_add_f32_e32 v4, v4, v6
	;; [unrolled: 1-line block ×3, first 2 shown]
	v_mov_b32_e32 v6, v58
	v_sub_f32_e32 v61, v42, v44
	v_add_f32_e32 v5, v5, v10
	v_fmac_f32_e32 v6, 0xbe11bafb, v59
	v_add_f32_e32 v60, v18, v19
	v_mul_f32_e32 v62, 0xbf7d64f0, v61
	v_add_f32_e32 v5, v5, v6
	v_fma_f32 v6, v60, s6, -v62
	v_mul_f32_e32 v63, 0xbf4178ce, v20
	v_add_f32_e32 v4, v4, v6
	v_mov_b32_e32 v6, v63
	v_mul_f32_e32 v64, 0x3f7d64f0, v21
	v_fmac_f32_e32 v6, 0xbf27a4f4, v33
	v_mov_b32_e32 v7, v64
	v_add_f32_e32 v6, v24, v6
	v_fmac_f32_e32 v7, 0xbe11bafb, v35
	v_mul_f32_e32 v65, 0xbf0a6770, v41
	v_add_f32_e32 v6, v6, v7
	v_mov_b32_e32 v7, v65
	v_fmac_f32_e32 v7, 0x3f575c64, v43
	v_mul_f32_e32 v66, 0xbe903f40, v45
	v_add_f32_e32 v6, v6, v7
	v_mov_b32_e32 v7, v66
	v_fmac_f32_e32 v7, 0xbf75a155, v46
	v_mul_f32_e32 v67, 0xbf4178ce, v12
	v_add_f32_e32 v6, v6, v7
	v_fma_f32 v7, v29, s4, -v67
	v_mul_f32_e32 v68, 0x3f7d64f0, v13
	v_add_f32_e32 v7, v1, v7
	v_fma_f32 v8, v31, s6, -v68
	;; [unrolled: 3-line block ×4, first 2 shown]
	v_mul_f32_e32 v71, 0x3f68dda4, v57
	v_add_f32_e32 v8, v7, v8
	v_mov_b32_e32 v7, v71
	v_fmac_f32_e32 v7, 0x3ed4b147, v59
	v_mul_f32_e32 v72, 0x3f68dda4, v61
	v_add_f32_e32 v7, v6, v7
	v_fma_f32 v6, v60, s5, -v72
	v_mul_f32_e32 v73, 0xbf7d64f0, v20
	v_add_f32_e32 v6, v8, v6
	v_mov_b32_e32 v8, v73
	v_mul_f32_e32 v74, 0x3e903f40, v21
	v_fmac_f32_e32 v8, 0xbe11bafb, v33
	v_mov_b32_e32 v9, v74
	v_add_f32_e32 v8, v24, v8
	v_fmac_f32_e32 v9, 0xbf75a155, v35
	v_mul_f32_e32 v75, 0x3f68dda4, v41
	v_add_f32_e32 v8, v8, v9
	v_mov_b32_e32 v9, v75
	v_fmac_f32_e32 v9, 0x3ed4b147, v43
	v_mul_f32_e32 v76, 0xbf0a6770, v45
	v_add_f32_e32 v8, v8, v9
	v_mov_b32_e32 v9, v76
	v_fmac_f32_e32 v9, 0x3f575c64, v46
	v_mul_f32_e32 v77, 0xbf7d64f0, v12
	v_add_f32_e32 v8, v8, v9
	v_fma_f32 v9, v29, s6, -v77
	v_mul_f32_e32 v78, 0x3e903f40, v13
	v_add_f32_e32 v9, v1, v9
	v_fma_f32 v10, v31, s0, -v78
	;; [unrolled: 3-line block ×4, first 2 shown]
	v_mul_f32_e32 v81, 0xbf4178ce, v57
	v_add_f32_e32 v10, v9, v10
	v_mov_b32_e32 v9, v81
	v_fmac_f32_e32 v9, 0xbf27a4f4, v59
	v_mul_f32_e32 v82, 0xbf4178ce, v61
	v_add_f32_e32 v9, v8, v9
	v_fma_f32 v8, v60, s4, -v82
	v_mul_f32_e32 v83, 0xbf68dda4, v20
	v_add_f32_e32 v8, v10, v8
	v_mov_b32_e32 v10, v83
	v_mul_f32_e32 v84, 0xbf4178ce, v21
	v_fmac_f32_e32 v10, 0x3ed4b147, v33
	v_mov_b32_e32 v11, v84
	v_add_f32_e32 v10, v24, v10
	v_fmac_f32_e32 v11, 0xbf27a4f4, v35
	v_mul_f32_e32 v85, 0x3e903f40, v41
	v_add_f32_e32 v10, v10, v11
	v_mov_b32_e32 v11, v85
	v_fmac_f32_e32 v11, 0xbf75a155, v43
	v_mul_f32_e32 v86, 0x3f7d64f0, v45
	v_add_f32_e32 v10, v10, v11
	v_mov_b32_e32 v11, v86
	v_fmac_f32_e32 v11, 0xbe11bafb, v46
	v_mul_f32_e32 v87, 0xbf68dda4, v12
	v_add_f32_e32 v10, v10, v11
	v_fma_f32 v11, v29, s5, -v87
	v_mul_f32_e32 v88, 0xbf4178ce, v13
	v_add_f32_e32 v11, v1, v11
	v_fma_f32 v89, v31, s4, -v88
	v_add_f32_e32 v11, v11, v89
	v_mul_f32_e32 v89, 0x3e903f40, v39
	v_fma_f32 v90, v37, s0, -v89
	v_add_f32_e32 v11, v11, v90
	v_mul_f32_e32 v90, 0x3f7d64f0, v48
	v_fma_f32 v91, v47, s6, -v90
	v_mul_f32_e32 v92, 0x3f0a6770, v57
	v_add_f32_e32 v91, v11, v91
	v_mov_b32_e32 v11, v92
	v_fmac_f32_e32 v11, 0x3f575c64, v59
	v_mul_f32_e32 v93, 0x3f0a6770, v61
	v_add_f32_e32 v11, v10, v11
	v_fma_f32 v10, v60, s1, -v93
	v_add_f32_e32 v10, v91, v10
	v_mul_f32_e32 v91, 0xbf0a6770, v20
	v_mov_b32_e32 v20, v91
	v_mul_f32_e32 v94, 0xbf68dda4, v21
	v_fmac_f32_e32 v20, 0x3f575c64, v33
	v_mov_b32_e32 v21, v94
	v_add_f32_e32 v20, v24, v20
	v_fmac_f32_e32 v21, 0x3ed4b147, v35
	v_mul_f32_e32 v41, 0xbf7d64f0, v41
	v_add_f32_e32 v20, v20, v21
	v_mov_b32_e32 v21, v41
	v_fmac_f32_e32 v21, 0xbe11bafb, v43
	v_mul_f32_e32 v45, 0xbf4178ce, v45
	v_add_f32_e32 v20, v20, v21
	v_mov_b32_e32 v21, v45
	v_fmac_f32_e32 v21, 0xbf27a4f4, v46
	v_add_f32_e32 v20, v20, v21
	v_add_f32_e32 v21, v1, v22
	;; [unrolled: 1-line block ×7, first 2 shown]
	v_mul_f32_e32 v95, 0xbf0a6770, v12
	v_add_f32_e32 v14, v27, v14
	v_fma_f32 v12, v29, s1, -v95
	v_mul_f32_e32 v96, 0xbf68dda4, v13
	v_add_f32_e32 v14, v25, v14
	v_add_f32_e32 v12, v1, v12
	v_fma_f32 v13, v31, s5, -v96
	v_mul_f32_e32 v39, 0xbf7d64f0, v39
	v_add_f32_e32 v14, v16, v14
	v_fma_f32 v16, v33, s0, -v51
	v_add_f32_e32 v12, v12, v13
	v_fma_f32 v13, v37, s6, -v39
	v_mul_f32_e32 v48, 0xbf4178ce, v48
	v_add_f32_e32 v14, v17, v14
	v_add_f32_e32 v16, v24, v16
	v_fma_f32 v17, v35, s1, -v52
	v_add_f32_e32 v12, v12, v13
	v_fma_f32 v13, v47, s4, -v48
	v_mul_f32_e32 v57, 0xbe903f40, v57
	v_add_f32_e32 v16, v16, v17
	v_fma_f32 v17, v43, s4, -v54
	v_add_f32_e32 v12, v12, v13
	v_mov_b32_e32 v13, v57
	v_add_f32_e32 v16, v16, v17
	v_fma_f32 v17, v46, s5, -v55
	v_fmac_f32_e32 v49, 0xbf75a155, v29
	v_fmac_f32_e32 v13, 0xbf75a155, v59
	v_mul_f32_e32 v61, 0xbe903f40, v61
	v_add_f32_e32 v16, v16, v17
	v_add_f32_e32 v17, v1, v49
	v_fmac_f32_e32 v50, 0x3f575c64, v31
	v_add_f32_e32 v13, v20, v13
	v_fma_f32 v20, v60, s0, -v61
	v_add_f32_e32 v17, v17, v50
	v_fmac_f32_e32 v53, 0xbf27a4f4, v37
	v_add_f32_e32 v12, v12, v20
	v_add_f32_e32 v20, v24, v30
	;; [unrolled: 1-line block ×3, first 2 shown]
	v_fmac_f32_e32 v56, 0x3ed4b147, v47
	v_add_f32_e32 v20, v20, v32
	v_add_f32_e32 v18, v17, v56
	v_fma_f32 v17, v59, s6, -v58
	v_fmac_f32_e32 v62, 0xbe11bafb, v60
	v_add_f32_e32 v20, v20, v38
	v_add_f32_e32 v17, v16, v17
	;; [unrolled: 1-line block ×3, first 2 shown]
	v_fma_f32 v18, v33, s4, -v63
	v_add_f32_e32 v20, v20, v40
	v_add_f32_e32 v18, v24, v18
	v_fma_f32 v19, v35, s6, -v64
	v_add_f32_e32 v20, v20, v42
	v_add_f32_e32 v18, v18, v19
	v_fma_f32 v19, v43, s1, -v65
	v_add_f32_e32 v20, v20, v44
	v_add_f32_e32 v18, v18, v19
	v_fma_f32 v19, v46, s0, -v66
	v_fmac_f32_e32 v67, 0xbf27a4f4, v29
	v_add_f32_e32 v20, v34, v20
	v_add_f32_e32 v18, v18, v19
	;; [unrolled: 1-line block ×3, first 2 shown]
	v_fmac_f32_e32 v68, 0xbe11bafb, v31
	v_add_f32_e32 v20, v36, v20
	v_add_f32_e32 v19, v19, v68
	v_fmac_f32_e32 v69, 0x3f575c64, v37
	v_add_f32_e32 v20, v26, v20
	v_add_f32_e32 v19, v19, v69
	;; [unrolled: 3-line block ×3, first 2 shown]
	v_fma_f32 v19, v59, s5, -v71
	v_fmac_f32_e32 v72, 0x3ed4b147, v60
	v_add_f32_e32 v19, v18, v19
	v_add_f32_e32 v18, v20, v72
	v_fma_f32 v20, v33, s6, -v73
	v_add_f32_e32 v20, v24, v20
	v_fma_f32 v21, v35, s0, -v74
	;; [unrolled: 2-line block ×4, first 2 shown]
	v_fmac_f32_e32 v77, 0xbe11bafb, v29
	v_add_f32_e32 v20, v20, v21
	v_add_f32_e32 v21, v1, v77
	v_fmac_f32_e32 v78, 0xbf75a155, v31
	v_add_f32_e32 v21, v21, v78
	v_fmac_f32_e32 v79, 0x3ed4b147, v37
	v_add_f32_e32 v21, v21, v79
	v_fmac_f32_e32 v80, 0x3f575c64, v47
	v_add_f32_e32 v22, v21, v80
	v_fma_f32 v21, v59, s4, -v81
	v_fmac_f32_e32 v82, 0xbf27a4f4, v60
	v_add_f32_e32 v21, v20, v21
	v_add_f32_e32 v20, v22, v82
	v_fma_f32 v22, v33, s5, -v83
	v_add_f32_e32 v22, v24, v22
	v_fma_f32 v23, v35, s4, -v84
	;; [unrolled: 2-line block ×4, first 2 shown]
	v_fmac_f32_e32 v87, 0x3ed4b147, v29
	v_add_f32_e32 v22, v22, v23
	v_add_f32_e32 v23, v1, v87
	v_fmac_f32_e32 v88, 0xbf27a4f4, v31
	v_add_f32_e32 v23, v23, v88
	v_fmac_f32_e32 v89, 0xbf75a155, v37
	;; [unrolled: 2-line block ×3, first 2 shown]
	v_add_f32_e32 v25, v23, v90
	v_fma_f32 v23, v59, s1, -v92
	v_fmac_f32_e32 v93, 0x3f575c64, v60
	v_add_f32_e32 v23, v22, v23
	v_add_f32_e32 v22, v25, v93
	v_fma_f32 v25, v33, s1, -v91
	v_fmac_f32_e32 v95, 0x3f575c64, v29
	v_add_f32_e32 v24, v24, v25
	v_fma_f32 v25, v35, s5, -v94
	v_add_f32_e32 v1, v1, v95
	v_fmac_f32_e32 v96, 0x3ed4b147, v31
	v_add_f32_e32 v24, v24, v25
	v_fma_f32 v25, v43, s6, -v41
	v_add_f32_e32 v1, v1, v96
	;; [unrolled: 4-line block ×4, first 2 shown]
	v_fmac_f32_e32 v61, 0xbf75a155, v60
	v_add_f32_e32 v25, v24, v25
	v_add_f32_e32 v24, v1, v61
	v_mov_b32_e32 v1, 0
	v_mov_b32_e32 v26, s3
	v_lshlrev_b64 v[0:1], 3, v[0:1]
	v_addc_co_u32_e32 v3, vcc, v26, v3, vcc
	v_add_co_u32_e32 v0, vcc, v2, v0
	v_addc_co_u32_e32 v1, vcc, v3, v1, vcc
	global_store_dwordx2 v[0:1], v[14:15], off
	global_store_dwordx2 v[0:1], v[12:13], off offset:216
	global_store_dwordx2 v[0:1], v[10:11], off offset:432
	;; [unrolled: 1-line block ×10, first 2 shown]
	s_endpgm
	.section	.rodata,"a",@progbits
	.p2align	6, 0x0
	.amdhsa_kernel fft_rtc_fwd_len297_factors_9_3_11_wgs_231_tpt_33_halfLds_sp_ip_CI_unitstride_sbrr_dirReg
		.amdhsa_group_segment_fixed_size 0
		.amdhsa_private_segment_fixed_size 0
		.amdhsa_kernarg_size 88
		.amdhsa_user_sgpr_count 6
		.amdhsa_user_sgpr_private_segment_buffer 1
		.amdhsa_user_sgpr_dispatch_ptr 0
		.amdhsa_user_sgpr_queue_ptr 0
		.amdhsa_user_sgpr_kernarg_segment_ptr 1
		.amdhsa_user_sgpr_dispatch_id 0
		.amdhsa_user_sgpr_flat_scratch_init 0
		.amdhsa_user_sgpr_private_segment_size 0
		.amdhsa_uses_dynamic_stack 0
		.amdhsa_system_sgpr_private_segment_wavefront_offset 0
		.amdhsa_system_sgpr_workgroup_id_x 1
		.amdhsa_system_sgpr_workgroup_id_y 0
		.amdhsa_system_sgpr_workgroup_id_z 0
		.amdhsa_system_sgpr_workgroup_info 0
		.amdhsa_system_vgpr_workitem_id 0
		.amdhsa_next_free_vgpr 97
		.amdhsa_next_free_sgpr 22
		.amdhsa_reserve_vcc 1
		.amdhsa_reserve_flat_scratch 0
		.amdhsa_float_round_mode_32 0
		.amdhsa_float_round_mode_16_64 0
		.amdhsa_float_denorm_mode_32 3
		.amdhsa_float_denorm_mode_16_64 3
		.amdhsa_dx10_clamp 1
		.amdhsa_ieee_mode 1
		.amdhsa_fp16_overflow 0
		.amdhsa_exception_fp_ieee_invalid_op 0
		.amdhsa_exception_fp_denorm_src 0
		.amdhsa_exception_fp_ieee_div_zero 0
		.amdhsa_exception_fp_ieee_overflow 0
		.amdhsa_exception_fp_ieee_underflow 0
		.amdhsa_exception_fp_ieee_inexact 0
		.amdhsa_exception_int_div_zero 0
	.end_amdhsa_kernel
	.text
.Lfunc_end0:
	.size	fft_rtc_fwd_len297_factors_9_3_11_wgs_231_tpt_33_halfLds_sp_ip_CI_unitstride_sbrr_dirReg, .Lfunc_end0-fft_rtc_fwd_len297_factors_9_3_11_wgs_231_tpt_33_halfLds_sp_ip_CI_unitstride_sbrr_dirReg
                                        ; -- End function
	.section	.AMDGPU.csdata,"",@progbits
; Kernel info:
; codeLenInByte = 5400
; NumSgprs: 26
; NumVgprs: 97
; ScratchSize: 0
; MemoryBound: 0
; FloatMode: 240
; IeeeMode: 1
; LDSByteSize: 0 bytes/workgroup (compile time only)
; SGPRBlocks: 3
; VGPRBlocks: 24
; NumSGPRsForWavesPerEU: 26
; NumVGPRsForWavesPerEU: 97
; Occupancy: 2
; WaveLimiterHint : 1
; COMPUTE_PGM_RSRC2:SCRATCH_EN: 0
; COMPUTE_PGM_RSRC2:USER_SGPR: 6
; COMPUTE_PGM_RSRC2:TRAP_HANDLER: 0
; COMPUTE_PGM_RSRC2:TGID_X_EN: 1
; COMPUTE_PGM_RSRC2:TGID_Y_EN: 0
; COMPUTE_PGM_RSRC2:TGID_Z_EN: 0
; COMPUTE_PGM_RSRC2:TIDIG_COMP_CNT: 0
	.type	__hip_cuid_566a4eee57aa3e95,@object ; @__hip_cuid_566a4eee57aa3e95
	.section	.bss,"aw",@nobits
	.globl	__hip_cuid_566a4eee57aa3e95
__hip_cuid_566a4eee57aa3e95:
	.byte	0                               ; 0x0
	.size	__hip_cuid_566a4eee57aa3e95, 1

	.ident	"AMD clang version 19.0.0git (https://github.com/RadeonOpenCompute/llvm-project roc-6.4.0 25133 c7fe45cf4b819c5991fe208aaa96edf142730f1d)"
	.section	".note.GNU-stack","",@progbits
	.addrsig
	.addrsig_sym __hip_cuid_566a4eee57aa3e95
	.amdgpu_metadata
---
amdhsa.kernels:
  - .args:
      - .actual_access:  read_only
        .address_space:  global
        .offset:         0
        .size:           8
        .value_kind:     global_buffer
      - .offset:         8
        .size:           8
        .value_kind:     by_value
      - .actual_access:  read_only
        .address_space:  global
        .offset:         16
        .size:           8
        .value_kind:     global_buffer
      - .actual_access:  read_only
        .address_space:  global
        .offset:         24
        .size:           8
        .value_kind:     global_buffer
      - .offset:         32
        .size:           8
        .value_kind:     by_value
      - .actual_access:  read_only
        .address_space:  global
        .offset:         40
        .size:           8
        .value_kind:     global_buffer
      - .actual_access:  read_only
        .address_space:  global
        .offset:         48
        .size:           8
        .value_kind:     global_buffer
      - .offset:         56
        .size:           4
        .value_kind:     by_value
      - .actual_access:  read_only
        .address_space:  global
        .offset:         64
        .size:           8
        .value_kind:     global_buffer
      - .actual_access:  read_only
        .address_space:  global
        .offset:         72
        .size:           8
        .value_kind:     global_buffer
      - .address_space:  global
        .offset:         80
        .size:           8
        .value_kind:     global_buffer
    .group_segment_fixed_size: 0
    .kernarg_segment_align: 8
    .kernarg_segment_size: 88
    .language:       OpenCL C
    .language_version:
      - 2
      - 0
    .max_flat_workgroup_size: 231
    .name:           fft_rtc_fwd_len297_factors_9_3_11_wgs_231_tpt_33_halfLds_sp_ip_CI_unitstride_sbrr_dirReg
    .private_segment_fixed_size: 0
    .sgpr_count:     26
    .sgpr_spill_count: 0
    .symbol:         fft_rtc_fwd_len297_factors_9_3_11_wgs_231_tpt_33_halfLds_sp_ip_CI_unitstride_sbrr_dirReg.kd
    .uniform_work_group_size: 1
    .uses_dynamic_stack: false
    .vgpr_count:     97
    .vgpr_spill_count: 0
    .wavefront_size: 64
amdhsa.target:   amdgcn-amd-amdhsa--gfx906
amdhsa.version:
  - 1
  - 2
...

	.end_amdgpu_metadata
